;; amdgpu-corpus repo=ROCm/rocFFT kind=compiled arch=gfx906 opt=O3
	.text
	.amdgcn_target "amdgcn-amd-amdhsa--gfx906"
	.amdhsa_code_object_version 6
	.protected	fft_rtc_back_len121_factors_11_11_wgs_121_tpt_11_dp_ip_CI_sbcc_twdbase8_3step ; -- Begin function fft_rtc_back_len121_factors_11_11_wgs_121_tpt_11_dp_ip_CI_sbcc_twdbase8_3step
	.globl	fft_rtc_back_len121_factors_11_11_wgs_121_tpt_11_dp_ip_CI_sbcc_twdbase8_3step
	.p2align	8
	.type	fft_rtc_back_len121_factors_11_11_wgs_121_tpt_11_dp_ip_CI_sbcc_twdbase8_3step,@function
fft_rtc_back_len121_factors_11_11_wgs_121_tpt_11_dp_ip_CI_sbcc_twdbase8_3step: ; @fft_rtc_back_len121_factors_11_11_wgs_121_tpt_11_dp_ip_CI_sbcc_twdbase8_3step
; %bb.0:
	s_load_dwordx4 s[0:3], s[4:5], 0x18
	s_mov_b32 s7, 0
	s_mov_b64 s[24:25], 0
	s_waitcnt lgkmcnt(0)
	s_load_dwordx2 s[20:21], s[0:1], 0x8
	s_waitcnt lgkmcnt(0)
	s_add_u32 s8, s20, -1
	s_addc_u32 s9, s21, -1
	s_add_u32 s10, 0, 0x5d161400
	s_addc_u32 s11, 0, 0x54
	s_mul_hi_u32 s13, s10, -11
	s_add_i32 s11, s11, 0x1745d120
	s_sub_i32 s13, s13, s10
	s_mul_i32 s16, s11, -11
	s_mul_i32 s12, s10, -11
	s_add_i32 s13, s13, s16
	s_mul_hi_u32 s14, s11, s12
	s_mul_i32 s15, s11, s12
	s_mul_i32 s17, s10, s13
	s_mul_hi_u32 s12, s10, s12
	s_mul_hi_u32 s16, s10, s13
	s_add_u32 s12, s12, s17
	s_addc_u32 s16, 0, s16
	s_add_u32 s12, s12, s15
	s_mul_hi_u32 s17, s11, s13
	s_addc_u32 s12, s16, s14
	s_addc_u32 s14, s17, 0
	s_mul_i32 s13, s11, s13
	s_add_u32 s12, s12, s13
	v_mov_b32_e32 v1, s12
	s_addc_u32 s13, 0, s14
	v_add_co_u32_e32 v1, vcc, s10, v1
	s_cmp_lg_u64 vcc, 0
	s_addc_u32 s10, s11, s13
	v_readfirstlane_b32 s13, v1
	s_mul_i32 s12, s8, s10
	s_mul_hi_u32 s14, s8, s13
	s_mul_hi_u32 s11, s8, s10
	s_add_u32 s12, s14, s12
	s_addc_u32 s11, 0, s11
	s_mul_hi_u32 s15, s9, s13
	s_mul_i32 s13, s9, s13
	s_add_u32 s12, s12, s13
	s_mul_hi_u32 s14, s9, s10
	s_addc_u32 s11, s11, s15
	s_addc_u32 s12, s14, 0
	s_mul_i32 s10, s9, s10
	s_add_u32 s10, s11, s10
	s_addc_u32 s11, 0, s12
	s_add_u32 s12, s10, 1
	s_addc_u32 s13, s11, 0
	s_add_u32 s14, s10, 2
	s_mul_i32 s16, s11, 11
	s_mul_hi_u32 s17, s10, 11
	s_addc_u32 s15, s11, 0
	s_add_i32 s17, s17, s16
	s_mul_i32 s16, s10, 11
	v_mov_b32_e32 v1, s16
	v_sub_co_u32_e32 v1, vcc, s8, v1
	s_cmp_lg_u64 vcc, 0
	s_subb_u32 s8, s9, s17
	v_subrev_co_u32_e32 v2, vcc, 11, v1
	s_cmp_lg_u64 vcc, 0
	s_subb_u32 s9, s8, 0
	v_readfirstlane_b32 s16, v2
	s_cmp_gt_u32 s16, 10
	s_cselect_b32 s16, -1, 0
	s_cmp_eq_u32 s9, 0
	s_cselect_b32 s9, s16, -1
	s_cmp_lg_u32 s9, 0
	s_cselect_b32 s9, s14, s12
	s_cselect_b32 s12, s15, s13
	v_readfirstlane_b32 s13, v1
	s_cmp_gt_u32 s13, 10
	s_cselect_b32 s13, -1, 0
	s_cmp_eq_u32 s8, 0
	s_cselect_b32 s8, s13, -1
	s_cmp_lg_u32 s8, 0
	s_cselect_b32 s9, s9, s10
	s_cselect_b32 s8, s12, s11
	s_add_u32 s22, s9, 1
	s_addc_u32 s23, s8, 0
	v_mov_b32_e32 v1, s22
	v_mov_b32_e32 v2, s23
	v_cmp_lt_u64_e32 vcc, s[6:7], v[1:2]
	s_cbranch_vccnz .LBB0_2
; %bb.1:
	v_cvt_f32_u32_e32 v1, s22
	s_sub_i32 s8, 0, s22
	s_mov_b32 s25, s7
	v_rcp_iflag_f32_e32 v1, v1
	v_mul_f32_e32 v1, 0x4f7ffffe, v1
	v_cvt_u32_f32_e32 v1, v1
	v_readfirstlane_b32 s9, v1
	s_mul_i32 s8, s8, s9
	s_mul_hi_u32 s8, s9, s8
	s_add_i32 s9, s9, s8
	s_mul_hi_u32 s8, s6, s9
	s_mul_i32 s10, s8, s22
	s_sub_i32 s10, s6, s10
	s_add_i32 s9, s8, 1
	s_sub_i32 s11, s10, s22
	s_cmp_ge_u32 s10, s22
	s_cselect_b32 s8, s9, s8
	s_cselect_b32 s10, s11, s10
	s_add_i32 s9, s8, 1
	s_cmp_ge_u32 s10, s22
	s_cselect_b32 s24, s9, s8
.LBB0_2:
	s_load_dwordx2 s[16:17], s[4:5], 0x58
	s_load_dwordx4 s[8:11], s[2:3], 0x0
	s_load_dwordx2 s[18:19], s[4:5], 0x0
	s_load_dwordx4 s[12:15], s[4:5], 0x8
	s_mul_i32 s4, s24, s23
	s_mul_hi_u32 s5, s24, s22
	s_add_i32 s5, s5, s4
	s_mul_i32 s4, s24, s22
	s_sub_u32 s38, s6, s4
	s_subb_u32 s4, 0, s5
	s_mul_i32 s4, s4, 11
	s_mul_hi_u32 s33, s38, 11
	s_add_i32 s33, s33, s4
	s_mul_i32 s38, s38, 11
	s_waitcnt lgkmcnt(0)
	s_mul_i32 s4, s10, s33
	s_mul_hi_u32 s5, s10, s38
	s_add_i32 s4, s5, s4
	s_mul_i32 s5, s11, s38
	s_add_i32 s39, s4, s5
	v_cmp_lt_u64_e64 s[4:5], s[14:15], 3
	s_mul_i32 s40, s10, s38
	s_and_b64 vcc, exec, s[4:5]
	s_cbranch_vccnz .LBB0_12
; %bb.3:
	s_add_u32 s4, s2, 16
	s_addc_u32 s5, s3, 0
	s_add_u32 s26, s0, 16
	v_mov_b32_e32 v1, s14
	s_addc_u32 s27, s1, 0
	s_mov_b64 s[28:29], 2
	s_mov_b32 s30, 0
	v_mov_b32_e32 v2, s15
.LBB0_4:                                ; =>This Inner Loop Header: Depth=1
	s_load_dwordx2 s[34:35], s[26:27], 0x0
	s_waitcnt lgkmcnt(0)
	s_or_b64 s[0:1], s[24:25], s[34:35]
	s_mov_b32 s31, s1
	s_cmp_lg_u64 s[30:31], 0
	s_cbranch_scc0 .LBB0_9
; %bb.5:                                ;   in Loop: Header=BB0_4 Depth=1
	v_cvt_f32_u32_e32 v3, s34
	v_cvt_f32_u32_e32 v4, s35
	s_sub_u32 s0, 0, s34
	s_subb_u32 s1, 0, s35
	v_mac_f32_e32 v3, 0x4f800000, v4
	v_rcp_f32_e32 v3, v3
	v_mul_f32_e32 v3, 0x5f7ffffc, v3
	v_mul_f32_e32 v4, 0x2f800000, v3
	v_trunc_f32_e32 v4, v4
	v_mac_f32_e32 v3, 0xcf800000, v4
	v_cvt_u32_f32_e32 v4, v4
	v_cvt_u32_f32_e32 v3, v3
	v_readfirstlane_b32 s31, v4
	v_readfirstlane_b32 s36, v3
	s_mul_i32 s37, s0, s31
	s_mul_hi_u32 s42, s0, s36
	s_mul_i32 s41, s1, s36
	s_add_i32 s37, s42, s37
	s_mul_i32 s43, s0, s36
	s_add_i32 s37, s37, s41
	s_mul_hi_u32 s41, s36, s37
	s_mul_i32 s42, s36, s37
	s_mul_hi_u32 s36, s36, s43
	s_add_u32 s36, s36, s42
	s_addc_u32 s41, 0, s41
	s_mul_hi_u32 s44, s31, s43
	s_mul_i32 s43, s31, s43
	s_add_u32 s36, s36, s43
	s_mul_hi_u32 s42, s31, s37
	s_addc_u32 s36, s41, s44
	s_addc_u32 s41, s42, 0
	s_mul_i32 s37, s31, s37
	s_add_u32 s36, s36, s37
	s_addc_u32 s37, 0, s41
	v_add_co_u32_e32 v3, vcc, s36, v3
	s_cmp_lg_u64 vcc, 0
	s_addc_u32 s31, s31, s37
	v_readfirstlane_b32 s37, v3
	s_mul_i32 s36, s0, s31
	s_mul_hi_u32 s41, s0, s37
	s_add_i32 s36, s41, s36
	s_mul_i32 s1, s1, s37
	s_add_i32 s36, s36, s1
	s_mul_i32 s0, s0, s37
	s_mul_hi_u32 s41, s31, s0
	s_mul_i32 s42, s31, s0
	s_mul_i32 s44, s37, s36
	s_mul_hi_u32 s0, s37, s0
	s_mul_hi_u32 s43, s37, s36
	s_add_u32 s0, s0, s44
	s_addc_u32 s37, 0, s43
	s_add_u32 s0, s0, s42
	s_mul_hi_u32 s1, s31, s36
	s_addc_u32 s0, s37, s41
	s_addc_u32 s1, s1, 0
	s_mul_i32 s36, s31, s36
	s_add_u32 s0, s0, s36
	s_addc_u32 s1, 0, s1
	v_add_co_u32_e32 v3, vcc, s0, v3
	s_cmp_lg_u64 vcc, 0
	s_addc_u32 s0, s31, s1
	v_readfirstlane_b32 s36, v3
	s_mul_i32 s31, s24, s0
	s_mul_hi_u32 s37, s24, s36
	s_mul_hi_u32 s1, s24, s0
	s_add_u32 s31, s37, s31
	s_addc_u32 s1, 0, s1
	s_mul_hi_u32 s41, s25, s36
	s_mul_i32 s36, s25, s36
	s_add_u32 s31, s31, s36
	s_mul_hi_u32 s37, s25, s0
	s_addc_u32 s1, s1, s41
	s_addc_u32 s31, s37, 0
	s_mul_i32 s0, s25, s0
	s_add_u32 s36, s1, s0
	s_addc_u32 s31, 0, s31
	s_mul_i32 s0, s34, s31
	s_mul_hi_u32 s1, s34, s36
	s_add_i32 s0, s1, s0
	s_mul_i32 s1, s35, s36
	s_add_i32 s37, s0, s1
	s_mul_i32 s1, s34, s36
	v_mov_b32_e32 v3, s1
	s_sub_i32 s0, s25, s37
	v_sub_co_u32_e32 v3, vcc, s24, v3
	s_cmp_lg_u64 vcc, 0
	s_subb_u32 s41, s0, s35
	v_subrev_co_u32_e64 v4, s[0:1], s34, v3
	s_cmp_lg_u64 s[0:1], 0
	s_subb_u32 s0, s41, 0
	s_cmp_ge_u32 s0, s35
	v_readfirstlane_b32 s41, v4
	s_cselect_b32 s1, -1, 0
	s_cmp_ge_u32 s41, s34
	s_cselect_b32 s41, -1, 0
	s_cmp_eq_u32 s0, s35
	s_cselect_b32 s0, s41, s1
	s_add_u32 s1, s36, 1
	s_addc_u32 s41, s31, 0
	s_add_u32 s42, s36, 2
	s_addc_u32 s43, s31, 0
	s_cmp_lg_u32 s0, 0
	s_cselect_b32 s0, s42, s1
	s_cselect_b32 s1, s43, s41
	s_cmp_lg_u64 vcc, 0
	s_subb_u32 s37, s25, s37
	s_cmp_ge_u32 s37, s35
	v_readfirstlane_b32 s42, v3
	s_cselect_b32 s41, -1, 0
	s_cmp_ge_u32 s42, s34
	s_cselect_b32 s42, -1, 0
	s_cmp_eq_u32 s37, s35
	s_cselect_b32 s37, s42, s41
	s_cmp_lg_u32 s37, 0
	s_cselect_b32 s1, s1, s31
	s_cselect_b32 s0, s0, s36
	s_cbranch_execnz .LBB0_7
.LBB0_6:                                ;   in Loop: Header=BB0_4 Depth=1
	v_cvt_f32_u32_e32 v3, s34
	s_sub_i32 s0, 0, s34
	v_rcp_iflag_f32_e32 v3, v3
	v_mul_f32_e32 v3, 0x4f7ffffe, v3
	v_cvt_u32_f32_e32 v3, v3
	v_readfirstlane_b32 s1, v3
	s_mul_i32 s0, s0, s1
	s_mul_hi_u32 s0, s1, s0
	s_add_i32 s1, s1, s0
	s_mul_hi_u32 s0, s24, s1
	s_mul_i32 s31, s0, s34
	s_sub_i32 s31, s24, s31
	s_add_i32 s1, s0, 1
	s_sub_i32 s36, s31, s34
	s_cmp_ge_u32 s31, s34
	s_cselect_b32 s0, s1, s0
	s_cselect_b32 s31, s36, s31
	s_add_i32 s1, s0, 1
	s_cmp_ge_u32 s31, s34
	s_cselect_b32 s0, s1, s0
	s_mov_b32 s1, s30
.LBB0_7:                                ;   in Loop: Header=BB0_4 Depth=1
	s_mul_i32 s23, s34, s23
	s_mul_hi_u32 s31, s34, s22
	s_add_i32 s23, s31, s23
	s_mul_i32 s31, s35, s22
	s_add_i32 s23, s23, s31
	s_mul_i32 s31, s0, s35
	s_mul_hi_u32 s35, s0, s34
	s_load_dwordx2 s[36:37], s[4:5], 0x0
	s_add_i32 s31, s35, s31
	s_mul_i32 s35, s1, s34
	s_mul_i32 s22, s34, s22
	s_add_i32 s31, s31, s35
	s_mul_i32 s34, s0, s34
	s_sub_u32 s24, s24, s34
	s_subb_u32 s25, s25, s31
	s_waitcnt lgkmcnt(0)
	s_mul_i32 s25, s36, s25
	s_mul_hi_u32 s31, s36, s24
	s_add_i32 s25, s31, s25
	s_mul_i32 s31, s37, s24
	s_add_i32 s25, s25, s31
	s_mul_i32 s24, s36, s24
	s_add_u32 s40, s24, s40
	s_addc_u32 s39, s25, s39
	s_add_u32 s28, s28, 1
	s_addc_u32 s29, s29, 0
	;; [unrolled: 2-line block ×3, first 2 shown]
	v_cmp_ge_u64_e32 vcc, s[28:29], v[1:2]
	s_add_u32 s26, s26, 8
	s_addc_u32 s27, s27, 0
	s_cbranch_vccnz .LBB0_10
; %bb.8:                                ;   in Loop: Header=BB0_4 Depth=1
	s_mov_b64 s[24:25], s[0:1]
	s_branch .LBB0_4
.LBB0_9:                                ;   in Loop: Header=BB0_4 Depth=1
                                        ; implicit-def: $sgpr0_sgpr1
	s_branch .LBB0_6
.LBB0_10:
	v_mov_b32_e32 v1, s22
	v_mov_b32_e32 v2, s23
	v_cmp_lt_u64_e32 vcc, s[6:7], v[1:2]
	s_mov_b64 s[24:25], 0
	s_cbranch_vccnz .LBB0_12
; %bb.11:
	v_cvt_f32_u32_e32 v1, s22
	s_sub_i32 s0, 0, s22
	v_rcp_iflag_f32_e32 v1, v1
	v_mul_f32_e32 v1, 0x4f7ffffe, v1
	v_cvt_u32_f32_e32 v1, v1
	v_readfirstlane_b32 s1, v1
	s_mul_i32 s0, s0, s1
	s_mul_hi_u32 s0, s1, s0
	s_add_i32 s1, s1, s0
	s_mul_hi_u32 s0, s6, s1
	s_mul_i32 s4, s0, s22
	s_sub_i32 s4, s6, s4
	s_add_i32 s1, s0, 1
	s_sub_i32 s5, s4, s22
	s_cmp_ge_u32 s4, s22
	s_cselect_b32 s0, s1, s0
	s_cselect_b32 s4, s5, s4
	s_add_i32 s1, s0, 1
	s_cmp_ge_u32 s4, s22
	s_cselect_b32 s24, s1, s0
.LBB0_12:
	s_lshl_b64 s[0:1], s[14:15], 3
	s_add_u32 s0, s2, s0
	s_addc_u32 s1, s3, s1
	s_load_dwordx2 s[0:1], s[0:1], 0x0
	v_mul_u32_u24_e32 v1, 0x1746, v0
	v_lshrrev_b32_e32 v48, 16, v1
	v_mov_b32_e32 v1, s20
	v_mov_b32_e32 v2, s21
	s_waitcnt lgkmcnt(0)
	s_mul_i32 s1, s1, s24
	s_mul_hi_u32 s2, s0, s24
	s_mul_i32 s0, s0, s24
	s_add_i32 s1, s2, s1
	s_add_u32 s2, s0, s40
	s_addc_u32 s3, s1, s39
	s_add_u32 s0, s38, 11
	s_addc_u32 s1, s33, 0
	v_cmp_le_u64_e32 vcc, s[0:1], v[1:2]
	v_mul_lo_u16_e32 v1, 11, v48
	v_sub_u16_e32 v54, v0, v1
	v_mov_b32_e32 v1, s33
	v_add_co_u32_e64 v0, s[0:1], s38, v54
	v_addc_co_u32_e64 v1, s[0:1], 0, v1, s[0:1]
	v_cmp_gt_u64_e64 s[0:1], s[20:21], v[0:1]
	v_lshlrev_b32_e32 v55, 4, v48
	s_or_b64 s[4:5], vcc, s[0:1]
	v_add_u32_e32 v53, 11, v48
	v_add_u32_e32 v52, 22, v48
	;; [unrolled: 1-line block ×5, first 2 shown]
	s_and_saveexec_b64 s[0:1], s[4:5]
	s_cbranch_execz .LBB0_14
; %bb.13:
	v_mad_u64_u32 v[0:1], s[6:7], s10, v54, 0
	v_mad_u64_u32 v[2:3], s[6:7], s8, v48, 0
	v_add_u32_e32 v33, 0x4d, v48
	v_add_u32_e32 v42, 0x63, v48
	v_mad_u64_u32 v[4:5], s[6:7], s11, v54, v[1:2]
	v_mov_b32_e32 v1, v3
	v_mad_u64_u32 v[5:6], s[6:7], s9, v48, v[1:2]
	s_lshl_b64 s[6:7], s[2:3], 4
	s_add_u32 s14, s16, s6
	s_addc_u32 s6, s17, s7
	v_mov_b32_e32 v1, v4
	v_mov_b32_e32 v3, v5
	;; [unrolled: 1-line block ×3, first 2 shown]
	v_mad_u64_u32 v[4:5], s[6:7], s8, v53, 0
	v_mad_u64_u32 v[6:7], s[6:7], s8, v52, 0
	v_lshlrev_b64 v[0:1], 4, v[0:1]
	v_mad_u64_u32 v[14:15], s[6:7], s8, v51, 0
	v_add_co_u32_e32 v56, vcc, s14, v0
	v_addc_co_u32_e32 v57, vcc, v8, v1, vcc
	v_lshlrev_b64 v[0:1], 4, v[2:3]
	v_mov_b32_e32 v2, v5
	v_mov_b32_e32 v3, v7
	v_mad_u64_u32 v[7:8], s[6:7], s9, v53, v[2:3]
	v_mad_u64_u32 v[2:3], s[6:7], s9, v52, v[3:4]
	v_add_co_u32_e32 v8, vcc, v56, v0
	v_mov_b32_e32 v5, v7
	v_addc_co_u32_e32 v9, vcc, v57, v1, vcc
	v_lshlrev_b64 v[0:1], 4, v[4:5]
	v_mov_b32_e32 v7, v2
	v_add_co_u32_e32 v12, vcc, v56, v0
	v_lshlrev_b64 v[10:11], 4, v[6:7]
	v_addc_co_u32_e32 v13, vcc, v57, v1, vcc
	global_load_dwordx4 v[0:3], v[8:9], off
	global_load_dwordx4 v[4:7], v[12:13], off
	v_mad_u64_u32 v[8:9], s[6:7], s8, v50, 0
	v_mad_u64_u32 v[16:17], s[6:7], s8, v49, 0
	v_mov_b32_e32 v12, v15
	v_mad_u64_u32 v[12:13], s[6:7], s9, v51, v[12:13]
	v_mad_u64_u32 v[18:19], s[6:7], s9, v50, v[9:10]
	v_mov_b32_e32 v9, v17
	v_mad_u64_u32 v[19:20], s[6:7], s9, v49, v[9:10]
	v_add_co_u32_e32 v20, vcc, v56, v10
	v_mov_b32_e32 v15, v12
	v_addc_co_u32_e32 v21, vcc, v57, v11, vcc
	v_lshlrev_b64 v[10:11], 4, v[14:15]
	v_mov_b32_e32 v9, v18
	v_mov_b32_e32 v17, v19
	v_lshlrev_b64 v[8:9], 4, v[8:9]
	v_lshlrev_b64 v[12:13], 4, v[16:17]
	v_add_co_u32_e32 v16, vcc, v56, v10
	v_add_u32_e32 v18, 0x42, v48
	v_addc_co_u32_e32 v17, vcc, v57, v11, vcc
	v_mad_u64_u32 v[26:27], s[6:7], s8, v18, 0
	v_add_co_u32_e32 v24, vcc, v56, v8
	v_addc_co_u32_e32 v25, vcc, v57, v9, vcc
	v_add_co_u32_e32 v28, vcc, v56, v12
	v_addc_co_u32_e32 v29, vcc, v57, v13, vcc
	global_load_dwordx4 v[8:11], v[20:21], off
	global_load_dwordx4 v[12:15], v[16:17], off
	v_mov_b32_e32 v16, v27
	v_mad_u64_u32 v[30:31], s[6:7], s9, v18, v[16:17]
	v_mad_u64_u32 v[31:32], s[6:7], s8, v33, 0
	v_mov_b32_e32 v27, v30
	global_load_dwordx4 v[16:19], v[24:25], off
	global_load_dwordx4 v[20:23], v[28:29], off
	v_lshlrev_b64 v[24:25], 4, v[26:27]
	v_mov_b32_e32 v26, v32
	v_mad_u64_u32 v[26:27], s[6:7], s9, v33, v[26:27]
	v_add_co_u32_e32 v33, vcc, v56, v24
	v_mov_b32_e32 v32, v26
	v_add_u32_e32 v26, 0x58, v48
	v_mad_u64_u32 v[35:36], s[6:7], s8, v26, 0
	v_addc_co_u32_e32 v34, vcc, v57, v25, vcc
	v_lshlrev_b64 v[24:25], 4, v[31:32]
	v_add_co_u32_e32 v37, vcc, v56, v24
	v_mov_b32_e32 v24, v36
	v_mad_u64_u32 v[39:40], s[6:7], s9, v26, v[24:25]
	v_mad_u64_u32 v[40:41], s[6:7], s8, v42, 0
	v_addc_co_u32_e32 v38, vcc, v57, v25, vcc
	global_load_dwordx4 v[24:27], v[33:34], off
	global_load_dwordx4 v[28:31], v[37:38], off
	v_mov_b32_e32 v36, v39
	v_mov_b32_e32 v34, v41
	v_lshlrev_b64 v[32:33], 4, v[35:36]
	v_mad_u64_u32 v[34:35], s[6:7], s9, v42, v[34:35]
	v_add_u32_e32 v35, 0x6e, v48
	v_mad_u64_u32 v[42:43], s[6:7], s8, v35, 0
	v_add_co_u32_e32 v44, vcc, v56, v32
	v_mov_b32_e32 v41, v34
	v_addc_co_u32_e32 v45, vcc, v57, v33, vcc
	v_lshlrev_b64 v[32:33], 4, v[40:41]
	v_mov_b32_e32 v34, v43
	v_add_co_u32_e32 v46, vcc, v56, v32
	v_mad_u64_u32 v[40:41], s[6:7], s9, v35, v[34:35]
	v_addc_co_u32_e32 v47, vcc, v57, v33, vcc
	global_load_dwordx4 v[32:35], v[44:45], off
	global_load_dwordx4 v[36:39], v[46:47], off
	v_mov_b32_e32 v43, v40
	v_lshlrev_b64 v[40:41], 4, v[42:43]
	v_mul_u32_u24_e32 v44, 0x790, v54
	v_add_co_u32_e32 v40, vcc, v56, v40
	v_addc_co_u32_e32 v41, vcc, v57, v41, vcc
	global_load_dwordx4 v[40:43], v[40:41], off
	v_add3_u32 v44, 0, v44, v55
	s_waitcnt vmcnt(10)
	ds_write_b128 v44, v[0:3]
	s_waitcnt vmcnt(9)
	ds_write_b128 v44, v[4:7] offset:176
	s_waitcnt vmcnt(8)
	ds_write_b128 v44, v[8:11] offset:352
	;; [unrolled: 2-line block ×10, first 2 shown]
.LBB0_14:
	s_or_b64 exec, exec, s[0:1]
	s_add_u32 s0, 0, 0x5d161400
	s_addc_u32 s1, 0, 0x54
	s_add_i32 s1, s1, 0x1745d120
	s_mul_hi_u32 s15, s0, -11
	s_sub_i32 s15, s15, s0
	s_mul_i32 s20, s1, -11
	s_mul_i32 s6, s0, -11
	s_add_i32 s15, s15, s20
	s_mul_hi_u32 s7, s1, s6
	s_mul_i32 s14, s1, s6
	s_mul_i32 s21, s0, s15
	s_mul_hi_u32 s6, s0, s6
	s_mul_hi_u32 s20, s0, s15
	s_add_u32 s6, s6, s21
	s_addc_u32 s20, 0, s20
	s_add_u32 s6, s6, s14
	s_mul_hi_u32 s21, s1, s15
	s_addc_u32 s6, s20, s7
	s_addc_u32 s7, s21, 0
	s_mul_i32 s14, s1, s15
	v_add_co_u32_e32 v57, vcc, s38, v48
	v_mov_b32_e32 v0, s33
	s_add_u32 s6, s6, s14
	v_addc_co_u32_e32 v4, vcc, 0, v0, vcc
	v_mov_b32_e32 v0, s6
	s_addc_u32 s7, 0, s7
	v_add_co_u32_e32 v2, vcc, s0, v0
	s_cmp_lg_u64 vcc, 0
	s_addc_u32 s6, s1, s7
	v_mad_u64_u32 v[0:1], s[0:1], v57, s6, 0
	v_mul_hi_u32 v3, v57, v2
	s_waitcnt lgkmcnt(0)
	s_barrier
	v_add_co_u32_e32 v5, vcc, v3, v0
	v_mad_u64_u32 v[2:3], s[0:1], v4, v2, 0
	v_addc_co_u32_e32 v6, vcc, 0, v1, vcc
	v_mad_u64_u32 v[0:1], s[0:1], v4, s6, 0
	v_add_co_u32_e32 v2, vcc, v5, v2
	v_addc_co_u32_e32 v2, vcc, v6, v3, vcc
	v_addc_co_u32_e32 v1, vcc, 0, v1, vcc
	v_add_co_u32_e32 v0, vcc, v2, v0
	v_addc_co_u32_e32 v2, vcc, 0, v1, vcc
	v_mad_u64_u32 v[0:1], s[0:1], v0, 11, 0
	s_mov_b32 s20, 0x8eee2c13
	s_mov_b32 s26, 0x43842ef
	v_mad_u64_u32 v[1:2], s[0:1], v2, 11, v[1:2]
	v_sub_co_u32_e32 v0, vcc, v57, v0
	v_subb_co_u32_e32 v1, vcc, v4, v1, vcc
	v_subrev_co_u32_e32 v2, vcc, 11, v0
	v_subbrev_co_u32_e32 v3, vcc, 0, v1, vcc
	v_cmp_lt_u32_e64 s[0:1], 10, v2
	v_cmp_eq_u32_e32 vcc, 0, v3
	v_cndmask_b32_e64 v3, 0, -1, s[0:1]
	v_cndmask_b32_e32 v3, -1, v3, vcc
	v_cmp_ne_u32_e32 vcc, 0, v3
	v_add_u32_e32 v3, -11, v2
	v_cmp_lt_u32_e64 s[0:1], 10, v0
	v_cndmask_b32_e32 v2, v2, v3, vcc
	v_cmp_eq_u32_e32 vcc, 0, v1
	v_cndmask_b32_e64 v1, 0, -1, s[0:1]
	v_cndmask_b32_e32 v1, -1, v1, vcc
	v_cmp_ne_u32_e32 vcc, 0, v1
	v_cndmask_b32_e32 v0, v0, v2, vcc
	v_mul_u32_u24_e32 v0, 0x79, v0
	v_lshlrev_b32_e32 v0, 4, v0
	v_lshlrev_b32_e32 v1, 4, v54
	v_add3_u32 v32, 0, v0, v1
	ds_read_b128 v[33:36], v32
	v_add3_u32 v56, 0, v1, v0
	ds_read_b128 v[37:40], v56 offset:176
	ds_read_b128 v[28:31], v56 offset:352
	;; [unrolled: 1-line block ×10, first 2 shown]
	s_mov_b32 s0, 0xf8bb580b
	s_mov_b32 s34, 0xbb3a28a1
	s_waitcnt lgkmcnt(9)
	v_add_f64 v[0:1], v[33:34], v[37:38]
	v_add_f64 v[2:3], v[35:36], v[39:40]
	s_waitcnt lgkmcnt(0)
	v_add_f64 v[62:63], v[39:40], v[60:61]
	v_add_f64 v[39:40], v[39:40], -v[60:61]
	s_mov_b32 s40, 0xfd768dbf
	s_mov_b32 s1, 0xbfe14ced
	;; [unrolled: 1-line block ×4, first 2 shown]
	v_add_f64 v[0:1], v[0:1], v[28:29]
	v_add_f64 v[2:3], v[2:3], v[30:31]
	s_mov_b32 s35, 0xbfe82f19
	s_mov_b32 s41, 0xbfd207e7
	v_add_f64 v[45:46], v[37:38], v[58:59]
	v_add_f64 v[37:38], v[37:38], -v[58:59]
	v_mul_f64 v[68:69], v[39:40], s[20:21]
	v_mul_f64 v[76:77], v[39:40], s[26:27]
	v_add_f64 v[0:1], v[0:1], v[20:21]
	v_add_f64 v[2:3], v[2:3], v[22:23]
	v_mul_f64 v[84:85], v[39:40], s[34:35]
	s_mov_b32 s6, 0x8764f0ba
	s_mov_b32 s22, 0xd9c712b6
	;; [unrolled: 1-line block ×5, first 2 shown]
	v_add_f64 v[0:1], v[0:1], v[12:13]
	v_add_f64 v[2:3], v[2:3], v[14:15]
	s_mov_b32 s7, 0x3feaeb8c
	s_mov_b32 s23, 0x3fda9628
	;; [unrolled: 1-line block ×5, first 2 shown]
	v_mul_f64 v[64:65], v[62:63], s[6:7]
	v_add_f64 v[0:1], v[0:1], v[4:5]
	v_add_f64 v[2:3], v[2:3], v[6:7]
	v_fma_f64 v[70:71], v[45:46], s[22:23], v[68:69]
	v_mul_f64 v[72:73], v[62:63], s[22:23]
	v_fma_f64 v[68:69], v[45:46], s[22:23], -v[68:69]
	v_fma_f64 v[78:79], v[45:46], s[28:29], v[76:77]
	v_mul_f64 v[80:81], v[62:63], s[28:29]
	v_fma_f64 v[76:77], v[45:46], s[28:29], -v[76:77]
	v_add_f64 v[0:1], v[0:1], v[8:9]
	v_add_f64 v[2:3], v[2:3], v[10:11]
	v_fma_f64 v[86:87], v[45:46], s[36:37], v[84:85]
	v_mul_f64 v[88:89], v[62:63], s[36:37]
	v_fma_f64 v[84:85], v[45:46], s[36:37], -v[84:85]
	v_mul_f64 v[62:63], v[62:63], s[42:43]
	s_mov_b32 s15, 0x3fe14ced
	s_mov_b32 s14, s0
	v_add_f64 v[0:1], v[0:1], v[16:17]
	v_add_f64 v[2:3], v[2:3], v[18:19]
	s_mov_b32 s25, 0x3fed1bb4
	s_mov_b32 s24, s20
	s_mov_b32 s31, 0x3fefac9e
	s_mov_b32 s30, s26
	s_mov_b32 s39, 0x3fe82f19
	s_mov_b32 s38, s34
	v_add_f64 v[0:1], v[0:1], v[24:25]
	v_add_f64 v[2:3], v[2:3], v[26:27]
	s_mov_b32 s45, 0x3fd207e7
	s_mov_b32 s44, s40
	v_fma_f64 v[66:67], v[37:38], s[14:15], v[64:65]
	v_fma_f64 v[64:65], v[37:38], s[0:1], v[64:65]
	v_add_f64 v[70:71], v[33:34], v[70:71]
	v_fma_f64 v[74:75], v[37:38], s[24:25], v[72:73]
	v_add_f64 v[0:1], v[0:1], v[41:42]
	v_add_f64 v[2:3], v[2:3], v[43:44]
	;; [unrolled: 1-line block ×3, first 2 shown]
	v_fma_f64 v[72:73], v[37:38], s[20:21], v[72:73]
	v_add_f64 v[78:79], v[33:34], v[78:79]
	v_fma_f64 v[82:83], v[37:38], s[30:31], v[80:81]
	v_add_f64 v[76:77], v[33:34], v[76:77]
	;; [unrolled: 2-line block ×3, first 2 shown]
	v_mul_f64 v[58:59], v[39:40], s[0:1]
	v_mul_f64 v[39:40], v[39:40], s[40:41]
	v_add_f64 v[2:3], v[2:3], v[60:61]
	v_add_f64 v[86:87], v[33:34], v[86:87]
	v_fma_f64 v[90:91], v[37:38], s[38:39], v[88:89]
	v_add_f64 v[84:85], v[33:34], v[84:85]
	v_fma_f64 v[88:89], v[37:38], s[34:35], v[88:89]
	v_fma_f64 v[94:95], v[37:38], s[44:45], v[62:63]
	;; [unrolled: 1-line block ×3, first 2 shown]
	v_fma_f64 v[58:59], v[45:46], s[6:7], -v[58:59]
	v_fma_f64 v[92:93], v[45:46], s[42:43], v[39:40]
	v_fma_f64 v[39:40], v[45:46], s[42:43], -v[39:40]
	v_fma_f64 v[37:38], v[37:38], s[40:41], v[62:63]
	v_add_f64 v[66:67], v[35:36], v[66:67]
	v_add_f64 v[64:65], v[35:36], v[64:65]
	;; [unrolled: 1-line block ×8, first 2 shown]
	v_add_f64 v[30:31], v[30:31], -v[43:44]
	v_add_f64 v[72:73], v[35:36], v[72:73]
	v_add_f64 v[82:83], v[35:36], v[82:83]
	;; [unrolled: 1-line block ×8, first 2 shown]
	v_add_f64 v[28:29], v[28:29], -v[41:42]
	v_mul_f64 v[41:42], v[30:31], s[20:21]
	v_mul_f64 v[45:46], v[39:40], s[22:23]
	s_movk_i32 s33, 0xa0
	s_barrier
	v_fma_f64 v[43:44], v[37:38], s[22:23], v[41:42]
	v_fma_f64 v[41:42], v[37:38], s[22:23], -v[41:42]
	v_add_f64 v[43:44], v[43:44], v[60:61]
	v_fma_f64 v[60:61], v[28:29], s[24:25], v[45:46]
	v_add_f64 v[41:42], v[41:42], v[58:59]
	v_fma_f64 v[45:46], v[28:29], s[20:21], v[45:46]
	v_mul_f64 v[58:59], v[30:31], s[34:35]
	v_add_f64 v[60:61], v[60:61], v[66:67]
	v_add_f64 v[45:46], v[45:46], v[64:65]
	v_fma_f64 v[62:63], v[37:38], s[36:37], v[58:59]
	v_mul_f64 v[64:65], v[39:40], s[36:37]
	v_fma_f64 v[58:59], v[37:38], s[36:37], -v[58:59]
	v_add_f64 v[62:63], v[62:63], v[70:71]
	v_fma_f64 v[66:67], v[28:29], s[38:39], v[64:65]
	v_add_f64 v[58:59], v[58:59], v[68:69]
	v_fma_f64 v[64:65], v[28:29], s[34:35], v[64:65]
	v_mul_f64 v[68:69], v[30:31], s[44:45]
	v_add_f64 v[66:67], v[66:67], v[74:75]
	v_add_f64 v[64:65], v[64:65], v[72:73]
	v_fma_f64 v[70:71], v[37:38], s[42:43], v[68:69]
	v_mul_f64 v[72:73], v[39:40], s[42:43]
	v_fma_f64 v[68:69], v[37:38], s[42:43], -v[68:69]
	v_add_f64 v[70:71], v[70:71], v[78:79]
	v_fma_f64 v[74:75], v[28:29], s[40:41], v[72:73]
	v_add_f64 v[68:69], v[68:69], v[76:77]
	v_fma_f64 v[72:73], v[28:29], s[44:45], v[72:73]
	v_mul_f64 v[76:77], v[30:31], s[30:31]
	v_mul_f64 v[30:31], v[30:31], s[14:15]
	v_add_f64 v[74:75], v[74:75], v[82:83]
	v_add_f64 v[72:73], v[72:73], v[80:81]
	v_fma_f64 v[78:79], v[37:38], s[28:29], v[76:77]
	v_mul_f64 v[80:81], v[39:40], s[28:29]
	v_mul_f64 v[39:40], v[39:40], s[6:7]
	v_fma_f64 v[76:77], v[37:38], s[28:29], -v[76:77]
	v_add_f64 v[78:79], v[78:79], v[86:87]
	v_fma_f64 v[82:83], v[28:29], s[26:27], v[80:81]
	v_fma_f64 v[80:81], v[28:29], s[30:31], v[80:81]
	;; [unrolled: 1-line block ×4, first 2 shown]
	v_add_f64 v[76:77], v[76:77], v[84:85]
	v_fma_f64 v[84:85], v[37:38], s[6:7], v[30:31]
	v_fma_f64 v[30:31], v[37:38], s[6:7], -v[30:31]
	v_add_f64 v[82:83], v[82:83], v[90:91]
	v_add_f64 v[80:81], v[80:81], v[88:89]
	;; [unrolled: 1-line block ×5, first 2 shown]
	v_add_f64 v[22:23], v[22:23], -v[26:27]
	v_add_f64 v[30:31], v[30:31], v[33:34]
	v_add_f64 v[33:34], v[20:21], v[24:25]
	v_add_f64 v[20:21], v[20:21], -v[24:25]
	v_add_f64 v[84:85], v[84:85], v[92:93]
	v_mul_f64 v[37:38], v[35:36], s[28:29]
	v_mul_f64 v[24:25], v[22:23], s[26:27]
	v_fma_f64 v[39:40], v[20:21], s[30:31], v[37:38]
	v_fma_f64 v[26:27], v[33:34], s[28:29], v[24:25]
	v_fma_f64 v[24:25], v[33:34], s[28:29], -v[24:25]
	v_fma_f64 v[37:38], v[20:21], s[26:27], v[37:38]
	v_add_f64 v[39:40], v[39:40], v[60:61]
	v_add_f64 v[26:27], v[26:27], v[43:44]
	;; [unrolled: 1-line block ×3, first 2 shown]
	v_mul_f64 v[41:42], v[22:23], s[44:45]
	v_add_f64 v[37:38], v[37:38], v[45:46]
	v_mul_f64 v[45:46], v[35:36], s[42:43]
	v_fma_f64 v[43:44], v[33:34], s[42:43], v[41:42]
	v_fma_f64 v[41:42], v[33:34], s[42:43], -v[41:42]
	v_fma_f64 v[60:61], v[20:21], s[40:41], v[45:46]
	v_fma_f64 v[45:46], v[20:21], s[44:45], v[45:46]
	v_add_f64 v[43:44], v[43:44], v[62:63]
	v_add_f64 v[41:42], v[41:42], v[58:59]
	v_mul_f64 v[58:59], v[22:23], s[24:25]
	v_add_f64 v[45:46], v[45:46], v[64:65]
	v_mul_f64 v[64:65], v[35:36], s[22:23]
	v_add_f64 v[60:61], v[60:61], v[66:67]
	v_fma_f64 v[62:63], v[33:34], s[22:23], v[58:59]
	v_fma_f64 v[58:59], v[33:34], s[22:23], -v[58:59]
	v_fma_f64 v[66:67], v[20:21], s[20:21], v[64:65]
	v_fma_f64 v[64:65], v[20:21], s[24:25], v[64:65]
	v_add_f64 v[62:63], v[62:63], v[70:71]
	v_add_f64 v[58:59], v[58:59], v[68:69]
	v_mul_f64 v[68:69], v[22:23], s[0:1]
	v_mul_f64 v[22:23], v[22:23], s[34:35]
	v_add_f64 v[64:65], v[64:65], v[72:73]
	v_mul_f64 v[72:73], v[35:36], s[6:7]
	v_mul_f64 v[35:36], v[35:36], s[36:37]
	v_add_f64 v[66:67], v[66:67], v[74:75]
	v_fma_f64 v[70:71], v[33:34], s[6:7], v[68:69]
	v_fma_f64 v[68:69], v[33:34], s[6:7], -v[68:69]
	v_fma_f64 v[74:75], v[20:21], s[14:15], v[72:73]
	v_fma_f64 v[72:73], v[20:21], s[0:1], v[72:73]
	v_add_f64 v[70:71], v[70:71], v[78:79]
	v_add_f64 v[68:69], v[68:69], v[76:77]
	v_fma_f64 v[76:77], v[33:34], s[36:37], v[22:23]
	v_fma_f64 v[22:23], v[33:34], s[36:37], -v[22:23]
	v_fma_f64 v[78:79], v[20:21], s[38:39], v[35:36]
	v_fma_f64 v[20:21], v[20:21], s[34:35], v[35:36]
	v_add_f64 v[72:73], v[72:73], v[80:81]
	v_add_f64 v[74:75], v[74:75], v[82:83]
	;; [unrolled: 1-line block ×5, first 2 shown]
	v_add_f64 v[14:15], v[14:15], -v[18:19]
	v_add_f64 v[20:21], v[20:21], v[28:29]
	v_add_f64 v[28:29], v[12:13], v[16:17]
	v_add_f64 v[12:13], v[12:13], -v[16:17]
	v_add_f64 v[78:79], v[78:79], v[86:87]
	v_mul_f64 v[16:17], v[14:15], s[34:35]
	v_fma_f64 v[18:19], v[28:29], s[36:37], v[16:17]
	v_fma_f64 v[16:17], v[28:29], s[36:37], -v[16:17]
	v_add_f64 v[26:27], v[18:19], v[26:27]
	v_mul_f64 v[18:19], v[30:31], s[36:37]
	v_add_f64 v[24:25], v[16:17], v[24:25]
	v_fma_f64 v[16:17], v[12:13], s[34:35], v[18:19]
	v_fma_f64 v[33:34], v[12:13], s[38:39], v[18:19]
	v_add_f64 v[35:36], v[16:17], v[37:38]
	v_mul_f64 v[16:17], v[14:15], s[30:31]
	v_add_f64 v[33:34], v[33:34], v[39:40]
	v_fma_f64 v[18:19], v[28:29], s[28:29], v[16:17]
	v_fma_f64 v[16:17], v[28:29], s[28:29], -v[16:17]
	v_add_f64 v[37:38], v[18:19], v[43:44]
	v_mul_f64 v[18:19], v[30:31], s[28:29]
	v_add_f64 v[41:42], v[16:17], v[41:42]
	v_fma_f64 v[16:17], v[12:13], s[30:31], v[18:19]
	v_fma_f64 v[39:40], v[12:13], s[26:27], v[18:19]
	v_add_f64 v[43:44], v[16:17], v[45:46]
	v_mul_f64 v[16:17], v[14:15], s[0:1]
	v_add_f64 v[39:40], v[39:40], v[60:61]
	v_fma_f64 v[18:19], v[28:29], s[6:7], v[16:17]
	v_fma_f64 v[16:17], v[28:29], s[6:7], -v[16:17]
	v_add_f64 v[45:46], v[18:19], v[62:63]
	v_mul_f64 v[18:19], v[30:31], s[6:7]
	v_add_f64 v[58:59], v[16:17], v[58:59]
	v_fma_f64 v[16:17], v[12:13], s[0:1], v[18:19]
	v_fma_f64 v[60:61], v[12:13], s[14:15], v[18:19]
	v_add_f64 v[62:63], v[16:17], v[64:65]
	v_mul_f64 v[16:17], v[14:15], s[40:41]
	v_mul_f64 v[14:15], v[14:15], s[24:25]
	v_add_f64 v[60:61], v[60:61], v[66:67]
	v_fma_f64 v[18:19], v[28:29], s[42:43], v[16:17]
	v_fma_f64 v[16:17], v[28:29], s[42:43], -v[16:17]
	v_add_f64 v[64:65], v[18:19], v[70:71]
	v_mul_f64 v[18:19], v[30:31], s[42:43]
	v_add_f64 v[68:69], v[16:17], v[68:69]
	v_fma_f64 v[16:17], v[12:13], s[40:41], v[18:19]
	v_fma_f64 v[66:67], v[12:13], s[44:45], v[18:19]
	v_add_f64 v[70:71], v[16:17], v[72:73]
	v_fma_f64 v[16:17], v[28:29], s[22:23], v[14:15]
	v_add_f64 v[66:67], v[66:67], v[74:75]
	v_add_f64 v[74:75], v[6:7], v[10:11]
	v_add_f64 v[10:11], v[6:7], -v[10:11]
	v_fma_f64 v[14:15], v[28:29], s[22:23], -v[14:15]
	v_add_f64 v[72:73], v[16:17], v[76:77]
	v_mul_f64 v[16:17], v[30:31], s[22:23]
	v_mul_f64 v[30:31], v[74:75], s[6:7]
	v_mul_f64 v[28:29], v[10:11], s[14:15]
	v_add_f64 v[14:15], v[14:15], v[22:23]
	v_mul_f64 v[22:23], v[74:75], s[42:43]
	v_fma_f64 v[18:19], v[12:13], s[20:21], v[16:17]
	v_fma_f64 v[12:13], v[12:13], s[24:25], v[16:17]
	v_add_f64 v[16:17], v[4:5], v[8:9]
	v_add_f64 v[4:5], v[4:5], -v[8:9]
	v_add_f64 v[18:19], v[18:19], v[78:79]
	v_add_f64 v[12:13], v[12:13], v[20:21]
	v_mul_f64 v[20:21], v[10:11], s[40:41]
	v_fma_f64 v[8:9], v[4:5], s[44:45], v[22:23]
	v_fma_f64 v[22:23], v[4:5], s[40:41], v[22:23]
	;; [unrolled: 1-line block ×3, first 2 shown]
	v_fma_f64 v[20:21], v[16:17], s[42:43], -v[20:21]
	v_add_f64 v[8:9], v[8:9], v[33:34]
	v_add_f64 v[22:23], v[22:23], v[35:36]
	v_add_f64 v[6:7], v[6:7], v[26:27]
	v_add_f64 v[20:21], v[20:21], v[24:25]
	v_fma_f64 v[24:25], v[16:17], s[6:7], v[28:29]
	v_fma_f64 v[26:27], v[4:5], s[0:1], v[30:31]
	v_fma_f64 v[28:29], v[16:17], s[6:7], -v[28:29]
	v_fma_f64 v[30:31], v[4:5], s[14:15], v[30:31]
	v_add_f64 v[24:25], v[24:25], v[37:38]
	v_mul_f64 v[37:38], v[10:11], s[34:35]
	v_add_f64 v[26:27], v[26:27], v[39:40]
	v_mul_f64 v[39:40], v[74:75], s[36:37]
	v_add_f64 v[28:29], v[28:29], v[41:42]
	v_add_f64 v[30:31], v[30:31], v[43:44]
	v_fma_f64 v[33:34], v[16:17], s[36:37], v[37:38]
	v_fma_f64 v[37:38], v[16:17], s[36:37], -v[37:38]
	v_fma_f64 v[35:36], v[4:5], s[38:39], v[39:40]
	v_fma_f64 v[39:40], v[4:5], s[34:35], v[39:40]
	v_add_f64 v[33:34], v[33:34], v[45:46]
	v_mul_f64 v[45:46], v[10:11], s[24:25]
	v_add_f64 v[35:36], v[35:36], v[60:61]
	v_mul_f64 v[60:61], v[74:75], s[22:23]
	;; [unrolled: 2-line block ×3, first 2 shown]
	v_add_f64 v[39:40], v[39:40], v[62:63]
	v_fma_f64 v[41:42], v[16:17], s[22:23], v[45:46]
	v_fma_f64 v[45:46], v[16:17], s[22:23], -v[45:46]
	v_fma_f64 v[43:44], v[4:5], s[20:21], v[60:61]
	v_add_f64 v[41:42], v[41:42], v[64:65]
	v_add_f64 v[58:59], v[45:46], v[68:69]
	v_fma_f64 v[45:46], v[4:5], s[24:25], v[60:61]
	v_add_f64 v[43:44], v[43:44], v[66:67]
	v_add_f64 v[60:61], v[45:46], v[70:71]
	v_fma_f64 v[45:46], v[16:17], s[28:29], v[10:11]
	v_fma_f64 v[10:11], v[16:17], s[28:29], -v[10:11]
	v_add_f64 v[62:63], v[45:46], v[72:73]
	v_mul_f64 v[45:46], v[74:75], s[28:29]
	v_add_f64 v[10:11], v[10:11], v[14:15]
	v_fma_f64 v[64:65], v[4:5], s[30:31], v[45:46]
	v_fma_f64 v[4:5], v[4:5], s[26:27], v[45:46]
	v_add_f64 v[64:65], v[64:65], v[18:19]
	v_add_f64 v[12:13], v[4:5], v[12:13]
	v_mad_u32_u24 v4, v54, s33, v56
	ds_write_b128 v4, v[0:3]
	ds_write_b128 v4, v[6:9] offset:16
	ds_write_b128 v4, v[24:27] offset:32
	;; [unrolled: 1-line block ×10, first 2 shown]
	v_mul_u32_u24_e32 v24, 10, v54
	v_lshlrev_b32_e32 v74, 4, v24
	s_waitcnt lgkmcnt(0)
	s_barrier
	ds_read_b128 v[0:3], v32
	ds_read_b128 v[4:7], v56 offset:176
	ds_read_b128 v[8:11], v56 offset:352
	;; [unrolled: 1-line block ×10, first 2 shown]
	global_load_dwordx4 v[58:61], v74, s[18:19] offset:48
	global_load_dwordx4 v[62:65], v74, s[18:19] offset:32
	;; [unrolled: 1-line block ×3, first 2 shown]
	global_load_dwordx4 v[66:69], v74, s[18:19]
	s_waitcnt vmcnt(0) lgkmcnt(9)
	v_mul_f64 v[70:71], v[6:7], v[68:69]
	v_fma_f64 v[70:71], v[4:5], v[66:67], v[70:71]
	v_mul_f64 v[4:5], v[4:5], v[68:69]
	v_fma_f64 v[66:67], v[6:7], v[66:67], -v[4:5]
	s_waitcnt lgkmcnt(8)
	v_mul_f64 v[4:5], v[10:11], v[26:27]
	v_fma_f64 v[68:69], v[8:9], v[24:25], v[4:5]
	v_mul_f64 v[4:5], v[8:9], v[26:27]
	v_fma_f64 v[72:73], v[10:11], v[24:25], -v[4:5]
	s_waitcnt lgkmcnt(7)
	;; [unrolled: 5-line block ×3, first 2 shown]
	v_mul_f64 v[4:5], v[18:19], v[60:61]
	v_fma_f64 v[14:15], v[16:17], v[58:59], v[4:5]
	v_mul_f64 v[4:5], v[16:17], v[60:61]
	v_fma_f64 v[8:9], v[18:19], v[58:59], -v[4:5]
	global_load_dwordx4 v[4:7], v74, s[18:19] offset:112
	global_load_dwordx4 v[58:61], v74, s[18:19] offset:96
	;; [unrolled: 1-line block ×4, first 2 shown]
	s_waitcnt vmcnt(0) lgkmcnt(5)
	v_mul_f64 v[10:11], v[22:23], v[18:19]
	v_mul_f64 v[12:13], v[20:21], v[18:19]
	s_waitcnt lgkmcnt(4)
	v_mul_f64 v[18:19], v[28:29], v[64:65]
	v_fma_f64 v[10:11], v[20:21], v[16:17], v[10:11]
	v_fma_f64 v[12:13], v[22:23], v[16:17], -v[12:13]
	v_mul_f64 v[16:17], v[30:31], v[64:65]
	s_waitcnt lgkmcnt(3)
	v_mul_f64 v[20:21], v[34:35], v[60:61]
	v_fma_f64 v[18:19], v[30:31], v[62:63], -v[18:19]
	v_fma_f64 v[16:17], v[28:29], v[62:63], v[16:17]
	v_fma_f64 v[22:23], v[32:33], v[58:59], v[20:21]
	v_mul_f64 v[20:21], v[32:33], v[60:61]
	s_waitcnt lgkmcnt(2)
	v_mul_f64 v[28:29], v[38:39], v[6:7]
	v_mul_f64 v[6:7], v[36:37], v[6:7]
	v_fma_f64 v[20:21], v[34:35], v[58:59], -v[20:21]
	v_fma_f64 v[32:33], v[36:37], v[4:5], v[28:29]
	v_fma_f64 v[34:35], v[38:39], v[4:5], -v[6:7]
	global_load_dwordx4 v[4:7], v74, s[18:19] offset:144
	global_load_dwordx4 v[28:31], v74, s[18:19] offset:128
	s_waitcnt vmcnt(0) lgkmcnt(1)
	v_mul_f64 v[36:37], v[42:43], v[30:31]
	v_mul_f64 v[30:31], v[40:41], v[30:31]
	v_fma_f64 v[36:37], v[40:41], v[28:29], v[36:37]
	v_fma_f64 v[28:29], v[42:43], v[28:29], -v[30:31]
	s_waitcnt lgkmcnt(0)
	v_mul_f64 v[30:31], v[46:47], v[6:7]
	v_mul_f64 v[6:7], v[44:45], v[6:7]
	v_fma_f64 v[30:31], v[44:45], v[4:5], v[30:31]
	v_fma_f64 v[38:39], v[46:47], v[4:5], -v[6:7]
	v_add_f64 v[6:7], v[2:3], v[66:67]
	v_add_f64 v[4:5], v[0:1], v[70:71]
	v_add_f64 v[40:41], v[70:71], v[30:31]
	v_add_f64 v[42:43], v[66:67], v[38:39]
	v_add_f64 v[6:7], v[6:7], v[72:73]
	v_add_f64 v[4:5], v[4:5], v[68:69]
	v_mul_f64 v[58:59], v[42:43], s[6:7]
	v_add_f64 v[6:7], v[6:7], v[24:25]
	v_add_f64 v[4:5], v[4:5], v[26:27]
	v_mul_f64 v[78:79], v[42:43], s[28:29]
	v_mul_f64 v[86:87], v[42:43], s[36:37]
	v_add_f64 v[6:7], v[6:7], v[8:9]
	v_add_f64 v[4:5], v[4:5], v[14:15]
	;; [unrolled: 1-line block ×13, first 2 shown]
	v_add_f64 v[38:39], v[66:67], -v[38:39]
	v_add_f64 v[4:5], v[4:5], v[30:31]
	v_add_f64 v[30:31], v[70:71], -v[30:31]
	v_mul_f64 v[66:67], v[42:43], s[22:23]
	v_mul_f64 v[42:43], v[42:43], s[42:43]
	;; [unrolled: 1-line block ×7, first 2 shown]
	v_fma_f64 v[60:61], v[30:31], s[14:15], v[58:59]
	v_fma_f64 v[58:59], v[30:31], s[0:1], v[58:59]
	;; [unrolled: 1-line block ×4, first 2 shown]
	v_fma_f64 v[44:45], v[40:41], s[6:7], -v[44:45]
	v_fma_f64 v[64:65], v[40:41], s[22:23], v[62:63]
	v_fma_f64 v[62:63], v[40:41], s[22:23], -v[62:63]
	v_fma_f64 v[76:77], v[40:41], s[28:29], v[74:75]
	;; [unrolled: 2-line block ×4, first 2 shown]
	v_fma_f64 v[38:39], v[40:41], s[42:43], -v[38:39]
	v_add_f64 v[46:47], v[0:1], v[46:47]
	v_add_f64 v[44:45], v[0:1], v[44:45]
	v_add_f64 v[64:65], v[0:1], v[64:65]
	v_add_f64 v[62:63], v[0:1], v[62:63]
	v_fma_f64 v[66:67], v[30:31], s[20:21], v[66:67]
	v_add_f64 v[76:77], v[0:1], v[76:77]
	v_fma_f64 v[80:81], v[30:31], s[30:31], v[78:79]
	v_add_f64 v[74:75], v[0:1], v[74:75]
	;; [unrolled: 2-line block ×7, first 2 shown]
	v_add_f64 v[28:29], v[72:73], -v[28:29]
	v_add_f64 v[60:61], v[2:3], v[60:61]
	v_add_f64 v[58:59], v[2:3], v[58:59]
	;; [unrolled: 1-line block ×11, first 2 shown]
	v_mul_f64 v[40:41], v[28:29], s[20:21]
	v_add_f64 v[36:37], v[68:69], -v[36:37]
	v_fma_f64 v[42:43], v[30:31], s[22:23], v[40:41]
	v_fma_f64 v[40:41], v[30:31], s[22:23], -v[40:41]
	v_add_f64 v[42:43], v[42:43], v[46:47]
	v_mul_f64 v[46:47], v[38:39], s[22:23]
	v_add_f64 v[40:41], v[40:41], v[44:45]
	v_fma_f64 v[68:69], v[36:37], s[24:25], v[46:47]
	v_fma_f64 v[44:45], v[36:37], s[20:21], v[46:47]
	v_mul_f64 v[46:47], v[28:29], s[34:35]
	v_add_f64 v[60:61], v[68:69], v[60:61]
	v_add_f64 v[44:45], v[44:45], v[58:59]
	v_fma_f64 v[58:59], v[30:31], s[36:37], v[46:47]
	v_fma_f64 v[46:47], v[30:31], s[36:37], -v[46:47]
	v_add_f64 v[58:59], v[58:59], v[64:65]
	v_mul_f64 v[64:65], v[38:39], s[36:37]
	v_add_f64 v[46:47], v[46:47], v[62:63]
	v_fma_f64 v[68:69], v[36:37], s[38:39], v[64:65]
	v_fma_f64 v[62:63], v[36:37], s[34:35], v[64:65]
	v_mul_f64 v[64:65], v[28:29], s[44:45]
	v_add_f64 v[68:69], v[68:69], v[70:71]
	v_add_f64 v[62:63], v[62:63], v[66:67]
	v_fma_f64 v[66:67], v[30:31], s[42:43], v[64:65]
	v_fma_f64 v[64:65], v[30:31], s[42:43], -v[64:65]
	v_mul_f64 v[70:71], v[38:39], s[42:43]
	v_add_f64 v[66:67], v[66:67], v[76:77]
	v_add_f64 v[64:65], v[64:65], v[74:75]
	v_mul_f64 v[74:75], v[28:29], s[30:31]
	v_fma_f64 v[72:73], v[36:37], s[40:41], v[70:71]
	v_fma_f64 v[70:71], v[36:37], s[44:45], v[70:71]
	v_mul_f64 v[28:29], v[28:29], s[14:15]
	v_fma_f64 v[76:77], v[30:31], s[28:29], v[74:75]
	v_fma_f64 v[74:75], v[30:31], s[28:29], -v[74:75]
	v_add_f64 v[70:71], v[70:71], v[78:79]
	v_mul_f64 v[78:79], v[38:39], s[28:29]
	v_mul_f64 v[38:39], v[38:39], s[6:7]
	v_add_f64 v[72:73], v[72:73], v[80:81]
	v_add_f64 v[76:77], v[76:77], v[84:85]
	;; [unrolled: 1-line block ×3, first 2 shown]
	v_fma_f64 v[82:83], v[30:31], s[6:7], v[28:29]
	v_fma_f64 v[28:29], v[30:31], s[6:7], -v[28:29]
	v_add_f64 v[30:31], v[24:25], v[34:35]
	v_add_f64 v[24:25], v[24:25], -v[34:35]
	v_fma_f64 v[80:81], v[36:37], s[26:27], v[78:79]
	v_fma_f64 v[78:79], v[36:37], s[30:31], v[78:79]
	;; [unrolled: 1-line block ×3, first 2 shown]
	v_add_f64 v[82:83], v[82:83], v[90:91]
	v_add_f64 v[0:1], v[28:29], v[0:1]
	v_fma_f64 v[28:29], v[36:37], s[14:15], v[38:39]
	v_mul_f64 v[36:37], v[30:31], s[28:29]
	v_add_f64 v[80:81], v[80:81], v[88:89]
	v_add_f64 v[78:79], v[78:79], v[86:87]
	;; [unrolled: 1-line block ×5, first 2 shown]
	v_add_f64 v[26:27], v[26:27], -v[32:33]
	v_mul_f64 v[32:33], v[24:25], s[26:27]
	v_fma_f64 v[38:39], v[26:27], s[30:31], v[36:37]
	v_fma_f64 v[34:35], v[28:29], s[28:29], v[32:33]
	v_fma_f64 v[32:33], v[28:29], s[28:29], -v[32:33]
	v_fma_f64 v[36:37], v[26:27], s[26:27], v[36:37]
	v_add_f64 v[38:39], v[38:39], v[60:61]
	v_add_f64 v[34:35], v[34:35], v[42:43]
	;; [unrolled: 1-line block ×3, first 2 shown]
	v_mul_f64 v[40:41], v[24:25], s[44:45]
	v_add_f64 v[36:37], v[36:37], v[44:45]
	v_mul_f64 v[44:45], v[30:31], s[42:43]
	v_fma_f64 v[42:43], v[28:29], s[42:43], v[40:41]
	v_fma_f64 v[40:41], v[28:29], s[42:43], -v[40:41]
	v_add_f64 v[42:43], v[42:43], v[58:59]
	v_add_f64 v[40:41], v[40:41], v[46:47]
	v_mul_f64 v[46:47], v[24:25], s[24:25]
	v_fma_f64 v[58:59], v[26:27], s[40:41], v[44:45]
	v_fma_f64 v[44:45], v[26:27], s[44:45], v[44:45]
	;; [unrolled: 1-line block ×3, first 2 shown]
	v_fma_f64 v[46:47], v[28:29], s[22:23], -v[46:47]
	v_add_f64 v[44:45], v[44:45], v[62:63]
	v_mul_f64 v[62:63], v[30:31], s[22:23]
	v_add_f64 v[58:59], v[58:59], v[68:69]
	v_add_f64 v[60:61], v[60:61], v[66:67]
	;; [unrolled: 1-line block ×3, first 2 shown]
	v_mul_f64 v[64:65], v[24:25], s[0:1]
	v_fma_f64 v[66:67], v[26:27], s[20:21], v[62:63]
	v_fma_f64 v[62:63], v[26:27], s[24:25], v[62:63]
	v_mul_f64 v[24:25], v[24:25], s[34:35]
	v_fma_f64 v[68:69], v[28:29], s[6:7], v[64:65]
	v_fma_f64 v[64:65], v[28:29], s[6:7], -v[64:65]
	v_add_f64 v[62:63], v[62:63], v[70:71]
	v_mul_f64 v[70:71], v[30:31], s[6:7]
	v_mul_f64 v[30:31], v[30:31], s[36:37]
	v_add_f64 v[66:67], v[66:67], v[72:73]
	v_add_f64 v[68:69], v[68:69], v[76:77]
	;; [unrolled: 1-line block ×3, first 2 shown]
	v_fma_f64 v[74:75], v[28:29], s[36:37], v[24:25]
	v_fma_f64 v[24:25], v[28:29], s[36:37], -v[24:25]
	v_fma_f64 v[72:73], v[26:27], s[14:15], v[70:71]
	v_fma_f64 v[70:71], v[26:27], s[0:1], v[70:71]
	;; [unrolled: 1-line block ×3, first 2 shown]
	v_add_f64 v[74:75], v[74:75], v[82:83]
	v_add_f64 v[0:1], v[24:25], v[0:1]
	v_fma_f64 v[24:25], v[26:27], s[34:35], v[30:31]
	v_add_f64 v[26:27], v[8:9], v[20:21]
	v_add_f64 v[8:9], v[8:9], -v[20:21]
	v_add_f64 v[70:71], v[70:71], v[78:79]
	v_add_f64 v[72:73], v[72:73], v[80:81]
	v_add_f64 v[80:81], v[12:13], -v[18:19]
	v_add_f64 v[78:79], v[10:11], -v[16:17]
	v_add_f64 v[76:77], v[76:77], v[84:85]
	v_add_f64 v[2:3], v[24:25], v[2:3]
	;; [unrolled: 1-line block ×3, first 2 shown]
	v_mul_f64 v[20:21], v[8:9], s[34:35]
	v_add_f64 v[14:15], v[14:15], -v[22:23]
	v_mul_f64 v[28:29], v[26:27], s[36:37]
	v_fma_f64 v[22:23], v[24:25], s[36:37], v[20:21]
	v_fma_f64 v[20:21], v[24:25], s[36:37], -v[20:21]
	v_fma_f64 v[30:31], v[14:15], s[38:39], v[28:29]
	v_fma_f64 v[28:29], v[14:15], s[34:35], v[28:29]
	v_add_f64 v[22:23], v[22:23], v[34:35]
	v_add_f64 v[20:21], v[20:21], v[32:33]
	v_mul_f64 v[32:33], v[8:9], s[30:31]
	v_add_f64 v[28:29], v[28:29], v[36:37]
	v_mul_f64 v[36:37], v[26:27], s[28:29]
	v_add_f64 v[30:31], v[30:31], v[38:39]
	v_fma_f64 v[34:35], v[24:25], s[28:29], v[32:33]
	v_fma_f64 v[32:33], v[24:25], s[28:29], -v[32:33]
	v_fma_f64 v[38:39], v[14:15], s[26:27], v[36:37]
	v_fma_f64 v[36:37], v[14:15], s[30:31], v[36:37]
	v_add_f64 v[34:35], v[34:35], v[42:43]
	v_add_f64 v[32:33], v[32:33], v[40:41]
	v_mul_f64 v[40:41], v[8:9], s[0:1]
	v_add_f64 v[38:39], v[38:39], v[58:59]
	v_add_f64 v[36:37], v[36:37], v[44:45]
	v_fma_f64 v[42:43], v[24:25], s[6:7], v[40:41]
	v_fma_f64 v[40:41], v[24:25], s[6:7], -v[40:41]
	v_add_f64 v[58:59], v[42:43], v[60:61]
	v_mul_f64 v[42:43], v[26:27], s[6:7]
	v_fma_f64 v[44:45], v[14:15], s[14:15], v[42:43]
	v_add_f64 v[60:61], v[44:45], v[66:67]
	v_add_f64 v[66:67], v[40:41], v[46:47]
	v_fma_f64 v[40:41], v[14:15], s[0:1], v[42:43]
	v_add_f64 v[62:63], v[40:41], v[62:63]
	v_mul_f64 v[40:41], v[8:9], s[40:41]
	v_mul_f64 v[8:9], v[8:9], s[24:25]
	v_fma_f64 v[42:43], v[24:25], s[42:43], v[40:41]
	v_fma_f64 v[40:41], v[24:25], s[42:43], -v[40:41]
	v_add_f64 v[68:69], v[42:43], v[68:69]
	v_mul_f64 v[42:43], v[26:27], s[42:43]
	v_add_f64 v[64:65], v[40:41], v[64:65]
	v_mul_f64 v[26:27], v[26:27], s[22:23]
	v_fma_f64 v[40:41], v[14:15], s[40:41], v[42:43]
	v_fma_f64 v[44:45], v[14:15], s[44:45], v[42:43]
	v_add_f64 v[70:71], v[40:41], v[70:71]
	v_fma_f64 v[40:41], v[24:25], s[22:23], v[8:9]
	v_fma_f64 v[8:9], v[24:25], s[22:23], -v[8:9]
	v_add_f64 v[24:25], v[12:13], v[18:19]
	v_mul_f64 v[18:19], v[80:81], s[34:35]
	v_add_f64 v[72:73], v[44:45], v[72:73]
	v_add_f64 v[74:75], v[40:41], v[74:75]
	v_fma_f64 v[40:41], v[14:15], s[20:21], v[26:27]
	v_add_f64 v[0:1], v[8:9], v[0:1]
	v_fma_f64 v[8:9], v[14:15], s[24:25], v[26:27]
	v_add_f64 v[26:27], v[10:11], v[16:17]
	v_mul_f64 v[10:11], v[80:81], s[40:41]
	v_mul_f64 v[12:13], v[24:25], s[42:43]
	;; [unrolled: 1-line block ×3, first 2 shown]
	v_add_f64 v[76:77], v[40:41], v[76:77]
	v_add_f64 v[2:3], v[8:9], v[2:3]
	v_fma_f64 v[8:9], v[26:27], s[42:43], v[10:11]
	v_fma_f64 v[14:15], v[78:79], s[44:45], v[12:13]
	v_fma_f64 v[10:11], v[26:27], s[42:43], -v[10:11]
	v_add_f64 v[8:9], v[8:9], v[22:23]
	v_add_f64 v[46:47], v[14:15], v[30:31]
	;; [unrolled: 1-line block ×3, first 2 shown]
	v_fma_f64 v[10:11], v[78:79], s[40:41], v[12:13]
	v_mul_f64 v[14:15], v[80:81], s[14:15]
	v_fma_f64 v[12:13], v[78:79], s[0:1], v[16:17]
	v_mul_f64 v[20:21], v[24:25], s[36:37]
	v_mul_f64 v[22:23], v[80:81], s[24:25]
	v_add_f64 v[40:41], v[10:11], v[28:29]
	v_fma_f64 v[10:11], v[26:27], s[6:7], v[14:15]
	v_fma_f64 v[14:15], v[26:27], s[6:7], -v[14:15]
	v_add_f64 v[12:13], v[12:13], v[38:39]
	v_mul_f64 v[28:29], v[24:25], s[22:23]
	v_add_f64 v[10:11], v[10:11], v[34:35]
	v_add_f64 v[38:39], v[14:15], v[32:33]
	v_fma_f64 v[14:15], v[78:79], s[14:15], v[16:17]
	v_fma_f64 v[16:17], v[78:79], s[38:39], v[20:21]
	v_add_f64 v[44:45], v[14:15], v[36:37]
	v_fma_f64 v[14:15], v[26:27], s[36:37], v[18:19]
	v_fma_f64 v[18:19], v[26:27], s[36:37], -v[18:19]
	v_add_f64 v[16:17], v[16:17], v[60:61]
	v_mov_b32_e32 v60, 4
	v_add_f64 v[14:15], v[14:15], v[58:59]
	v_add_f64 v[34:35], v[18:19], v[66:67]
	v_fma_f64 v[18:19], v[78:79], s[34:35], v[20:21]
	v_fma_f64 v[20:21], v[78:79], s[20:21], v[28:29]
	v_mul_f64 v[58:59], v[24:25], s[28:29]
	v_add_f64 v[36:37], v[18:19], v[62:63]
	v_fma_f64 v[18:19], v[26:27], s[22:23], v[22:23]
	v_fma_f64 v[22:23], v[26:27], s[22:23], -v[22:23]
	v_fma_f64 v[24:25], v[78:79], s[30:31], v[58:59]
	v_add_f64 v[20:21], v[20:21], v[72:73]
	v_add_f64 v[18:19], v[18:19], v[68:69]
	;; [unrolled: 1-line block ×3, first 2 shown]
	v_fma_f64 v[22:23], v[78:79], s[24:25], v[28:29]
	v_mul_f64 v[28:29], v[80:81], s[26:27]
	v_add_f64 v[24:25], v[24:25], v[76:77]
	v_add_f64 v[32:33], v[22:23], v[70:71]
	v_fma_f64 v[22:23], v[26:27], s[28:29], v[28:29]
	v_fma_f64 v[26:27], v[26:27], s[28:29], -v[28:29]
	v_add_f64 v[22:23], v[22:23], v[74:75]
	v_add_f64 v[26:27], v[26:27], v[0:1]
	v_fma_f64 v[0:1], v[78:79], s[26:27], v[58:59]
	v_mul_lo_u32 v58, v57, v54
	v_mov_b32_e32 v59, 0x1000
	v_bfe_u32 v61, v58, 8, 8
	v_lshl_or_b32 v61, v61, 4, v59
	global_load_dwordx4 v[61:64], v61, s[12:13]
	v_add_f64 v[28:29], v[0:1], v[2:3]
	v_lshlrev_b32_sdwa v0, v60, v58 dst_sel:DWORD dst_unused:UNUSED_PAD src0_sel:DWORD src1_sel:BYTE_0
	global_load_dwordx4 v[0:3], v0, s[12:13]
	s_waitcnt vmcnt(0)
	v_mul_f64 v[65:66], v[2:3], v[63:64]
	v_fma_f64 v[65:66], v[0:1], v[61:62], -v[65:66]
	v_mul_f64 v[0:1], v[0:1], v[63:64]
	v_fma_f64 v[61:62], v[2:3], v[61:62], v[0:1]
	v_bfe_u32 v0, v58, 16, 8
	v_mov_b32_e32 v58, 0x2000
	v_lshl_or_b32 v0, v0, 4, v58
	global_load_dwordx4 v[0:3], v0, s[12:13]
	s_waitcnt vmcnt(0)
	v_mul_f64 v[63:64], v[61:62], v[2:3]
	v_mul_f64 v[2:3], v[65:66], v[2:3]
	v_fma_f64 v[63:64], v[0:1], v[65:66], -v[63:64]
	v_fma_f64 v[2:3], v[0:1], v[61:62], v[2:3]
	v_mul_f64 v[0:1], v[6:7], v[2:3]
	v_mul_f64 v[2:3], v[4:5], v[2:3]
	v_fma_f64 v[0:1], v[4:5], v[63:64], v[0:1]
	v_add_u32_e32 v4, 11, v54
	v_mul_lo_u32 v67, v57, v4
	v_fma_f64 v[2:3], v[6:7], v[63:64], -v[2:3]
	v_bfe_u32 v61, v67, 8, 8
	v_lshlrev_b32_sdwa v4, v60, v67 dst_sel:DWORD dst_unused:UNUSED_PAD src0_sel:DWORD src1_sel:BYTE_0
	v_lshl_or_b32 v61, v61, 4, v59
	global_load_dwordx4 v[4:7], v4, s[12:13]
	s_nop 0
	global_load_dwordx4 v[61:64], v61, s[12:13]
	s_waitcnt vmcnt(0)
	v_mul_f64 v[65:66], v[6:7], v[63:64]
	v_fma_f64 v[65:66], v[4:5], v[61:62], -v[65:66]
	v_mul_f64 v[4:5], v[4:5], v[63:64]
	v_fma_f64 v[61:62], v[6:7], v[61:62], v[4:5]
	v_bfe_u32 v4, v67, 16, 8
	v_lshl_or_b32 v4, v4, 4, v58
	global_load_dwordx4 v[4:7], v4, s[12:13]
	s_waitcnt vmcnt(0)
	v_mul_f64 v[63:64], v[61:62], v[6:7]
	v_mul_f64 v[6:7], v[65:66], v[6:7]
	v_fma_f64 v[63:64], v[4:5], v[65:66], -v[63:64]
	v_fma_f64 v[6:7], v[4:5], v[61:62], v[6:7]
	v_mul_f64 v[4:5], v[46:47], v[6:7]
	v_mul_f64 v[6:7], v[8:9], v[6:7]
	v_fma_f64 v[4:5], v[8:9], v[63:64], v[4:5]
	v_add_u32_e32 v8, 22, v54
	v_mul_lo_u32 v69, v57, v8
	v_fma_f64 v[6:7], v[46:47], v[63:64], -v[6:7]
	v_lshlrev_b32_sdwa v8, v60, v69 dst_sel:DWORD dst_unused:UNUSED_PAD src0_sel:DWORD src1_sel:BYTE_0
	global_load_dwordx4 v[61:64], v8, s[12:13]
	v_bfe_u32 v8, v69, 8, 8
	v_lshl_or_b32 v8, v8, 4, v59
	global_load_dwordx4 v[65:68], v8, s[12:13]
	s_waitcnt vmcnt(0)
	v_mul_f64 v[8:9], v[63:64], v[67:68]
	v_mul_f64 v[46:47], v[61:62], v[67:68]
	v_fma_f64 v[8:9], v[61:62], v[65:66], -v[8:9]
	v_bfe_u32 v61, v69, 16, 8
	v_lshl_or_b32 v61, v61, 4, v58
	v_fma_f64 v[46:47], v[63:64], v[65:66], v[46:47]
	global_load_dwordx4 v[61:64], v61, s[12:13]
	s_waitcnt vmcnt(0)
	v_mul_f64 v[65:66], v[46:47], v[63:64]
	v_fma_f64 v[65:66], v[61:62], v[8:9], -v[65:66]
	v_mul_f64 v[8:9], v[8:9], v[63:64]
	v_fma_f64 v[46:47], v[61:62], v[46:47], v[8:9]
	v_mul_f64 v[8:9], v[12:13], v[46:47]
	v_fma_f64 v[8:9], v[10:11], v[65:66], v[8:9]
	v_mul_f64 v[10:11], v[10:11], v[46:47]
	v_fma_f64 v[10:11], v[12:13], v[65:66], -v[10:11]
	v_add_u32_e32 v12, 33, v54
	v_mul_lo_u32 v69, v57, v12
	v_lshlrev_b32_sdwa v12, v60, v69 dst_sel:DWORD dst_unused:UNUSED_PAD src0_sel:DWORD src1_sel:BYTE_0
	global_load_dwordx4 v[61:64], v12, s[12:13]
	v_bfe_u32 v12, v69, 8, 8
	v_lshl_or_b32 v12, v12, 4, v59
	global_load_dwordx4 v[65:68], v12, s[12:13]
	s_waitcnt vmcnt(0)
	v_mul_f64 v[12:13], v[63:64], v[67:68]
	v_mul_f64 v[46:47], v[61:62], v[67:68]
	v_fma_f64 v[12:13], v[61:62], v[65:66], -v[12:13]
	v_bfe_u32 v61, v69, 16, 8
	v_lshl_or_b32 v61, v61, 4, v58
	v_fma_f64 v[46:47], v[63:64], v[65:66], v[46:47]
	global_load_dwordx4 v[61:64], v61, s[12:13]
	s_waitcnt vmcnt(0)
	v_mul_f64 v[65:66], v[46:47], v[63:64]
	v_fma_f64 v[65:66], v[61:62], v[12:13], -v[65:66]
	v_mul_f64 v[12:13], v[12:13], v[63:64]
	v_fma_f64 v[46:47], v[61:62], v[46:47], v[12:13]
	v_mul_f64 v[12:13], v[16:17], v[46:47]
	v_fma_f64 v[12:13], v[14:15], v[65:66], v[12:13]
	v_mul_f64 v[14:15], v[14:15], v[46:47]
	v_fma_f64 v[14:15], v[16:17], v[65:66], -v[14:15]
	v_add_u32_e32 v16, 44, v54
	v_mul_lo_u32 v69, v57, v16
	;; [unrolled: 24-line block ×8, first 2 shown]
	v_lshlrev_b32_sdwa v44, v60, v57 dst_sel:DWORD dst_unused:UNUSED_PAD src0_sel:DWORD src1_sel:BYTE_0
	global_load_dwordx4 v[60:63], v44, s[12:13]
	v_bfe_u32 v44, v57, 8, 8
	v_lshl_or_b32 v44, v44, 4, v59
	global_load_dwordx4 v[64:67], v44, s[12:13]
	v_bfe_u32 v57, v57, 16, 8
	v_lshl_or_b32 v57, v57, 4, v58
	s_waitcnt vmcnt(0)
	v_mul_f64 v[44:45], v[62:63], v[66:67]
	v_fma_f64 v[46:47], v[60:61], v[64:65], -v[44:45]
	v_mul_f64 v[44:45], v[60:61], v[66:67]
	global_load_dwordx4 v[57:60], v57, s[12:13]
	s_waitcnt vmcnt(0)
	s_barrier
	v_fma_f64 v[44:45], v[62:63], v[64:65], v[44:45]
	v_mul_f64 v[61:62], v[44:45], v[59:60]
	v_fma_f64 v[61:62], v[57:58], v[46:47], -v[61:62]
	v_mul_f64 v[46:47], v[46:47], v[59:60]
	v_fma_f64 v[46:47], v[57:58], v[44:45], v[46:47]
	v_mul_f64 v[44:45], v[40:41], v[46:47]
	v_fma_f64 v[44:45], v[42:43], v[61:62], v[44:45]
	v_mul_f64 v[42:43], v[42:43], v[46:47]
	v_fma_f64 v[46:47], v[40:41], v[61:62], -v[42:43]
	ds_write_b128 v56, v[0:3]
	ds_write_b128 v56, v[4:7] offset:176
	ds_write_b128 v56, v[8:11] offset:352
	;; [unrolled: 1-line block ×10, first 2 shown]
	s_waitcnt lgkmcnt(0)
	s_barrier
	s_and_saveexec_b64 s[0:1], s[4:5]
	s_cbranch_execz .LBB0_16
; %bb.15:
	v_mad_u64_u32 v[4:5], s[0:1], s10, v54, 0
	v_mad_u64_u32 v[6:7], s[0:1], s8, v48, 0
	v_mov_b32_e32 v0, v5
	v_mad_u64_u32 v[0:1], s[0:1], s11, v54, v[0:1]
	v_mov_b32_e32 v1, v7
	;; [unrolled: 2-line block ×3, first 2 shown]
	s_lshl_b64 s[0:1], s[2:3], 4
	v_mul_u32_u24_e32 v0, 0x790, v54
	s_add_u32 s0, s16, s0
	v_lshlrev_b64 v[4:5], 4, v[4:5]
	v_add3_u32 v12, 0, v0, v55
	s_addc_u32 s1, s17, s1
	v_mov_b32_e32 v7, v1
	ds_read_b128 v[0:3], v12
	v_mov_b32_e32 v8, s1
	v_add_co_u32_e32 v13, vcc, s0, v4
	v_addc_co_u32_e32 v14, vcc, v8, v5, vcc
	v_lshlrev_b64 v[4:5], 4, v[6:7]
	v_mad_u64_u32 v[8:9], s[0:1], s8, v53, 0
	v_add_co_u32_e32 v10, vcc, v13, v4
	v_addc_co_u32_e32 v11, vcc, v14, v5, vcc
	ds_read_b128 v[4:7], v12 offset:176
	s_waitcnt lgkmcnt(1)
	global_store_dwordx4 v[10:11], v[0:3], off
	v_mad_u64_u32 v[10:11], s[0:1], s8, v52, 0
	v_mov_b32_e32 v0, v9
	v_mad_u64_u32 v[0:1], s[0:1], s9, v53, v[0:1]
	v_mov_b32_e32 v2, v11
	;; [unrolled: 2-line block ×3, first 2 shown]
	v_lshlrev_b64 v[0:1], 4, v[8:9]
	v_mov_b32_e32 v11, v2
	v_add_co_u32_e32 v0, vcc, v13, v0
	v_addc_co_u32_e32 v1, vcc, v14, v1, vcc
	s_waitcnt lgkmcnt(0)
	global_store_dwordx4 v[0:1], v[4:7], off
	ds_read_b128 v[0:3], v12 offset:352
	v_lshlrev_b64 v[4:5], 4, v[10:11]
	v_mad_u64_u32 v[8:9], s[0:1], s8, v51, 0
	v_add_co_u32_e32 v10, vcc, v13, v4
	v_addc_co_u32_e32 v11, vcc, v14, v5, vcc
	ds_read_b128 v[4:7], v12 offset:528
	s_waitcnt lgkmcnt(1)
	global_store_dwordx4 v[10:11], v[0:3], off
	v_mad_u64_u32 v[10:11], s[0:1], s8, v50, 0
	v_mov_b32_e32 v0, v9
	v_mad_u64_u32 v[0:1], s[0:1], s9, v51, v[0:1]
	v_mov_b32_e32 v2, v11
	;; [unrolled: 2-line block ×3, first 2 shown]
	v_lshlrev_b64 v[0:1], 4, v[8:9]
	v_mov_b32_e32 v11, v2
	v_add_co_u32_e32 v0, vcc, v13, v0
	v_addc_co_u32_e32 v1, vcc, v14, v1, vcc
	s_waitcnt lgkmcnt(0)
	global_store_dwordx4 v[0:1], v[4:7], off
	ds_read_b128 v[0:3], v12 offset:704
	v_lshlrev_b64 v[4:5], 4, v[10:11]
	v_mad_u64_u32 v[8:9], s[0:1], s8, v49, 0
	v_add_co_u32_e32 v10, vcc, v13, v4
	v_addc_co_u32_e32 v11, vcc, v14, v5, vcc
	ds_read_b128 v[4:7], v12 offset:880
	s_waitcnt lgkmcnt(1)
	global_store_dwordx4 v[10:11], v[0:3], off
	v_add_u32_e32 v15, 0x4d, v48
	v_mov_b32_e32 v0, v9
	v_add_u32_e32 v3, 0x42, v48
	v_mad_u64_u32 v[0:1], s[0:1], s9, v49, v[0:1]
	v_mad_u64_u32 v[10:11], s[0:1], s8, v3, 0
	v_mov_b32_e32 v9, v0
	v_lshlrev_b64 v[0:1], 4, v[8:9]
	v_mov_b32_e32 v2, v11
	v_mad_u64_u32 v[2:3], s[0:1], s9, v3, v[2:3]
	v_add_co_u32_e32 v0, vcc, v13, v0
	v_addc_co_u32_e32 v1, vcc, v14, v1, vcc
	s_waitcnt lgkmcnt(0)
	global_store_dwordx4 v[0:1], v[4:7], off
	v_mov_b32_e32 v11, v2
	ds_read_b128 v[0:3], v12 offset:1056
	v_lshlrev_b64 v[4:5], 4, v[10:11]
	v_mad_u64_u32 v[8:9], s[0:1], s8, v15, 0
	v_add_co_u32_e32 v10, vcc, v13, v4
	v_addc_co_u32_e32 v11, vcc, v14, v5, vcc
	ds_read_b128 v[4:7], v12 offset:1232
	s_waitcnt lgkmcnt(1)
	global_store_dwordx4 v[10:11], v[0:3], off
	s_nop 0
	v_mov_b32_e32 v0, v9
	v_add_u32_e32 v3, 0x58, v48
	v_mad_u64_u32 v[0:1], s[0:1], s9, v15, v[0:1]
	v_mad_u64_u32 v[10:11], s[0:1], s8, v3, 0
	v_mov_b32_e32 v9, v0
	v_lshlrev_b64 v[0:1], 4, v[8:9]
	v_mov_b32_e32 v2, v11
	v_mad_u64_u32 v[2:3], s[0:1], s9, v3, v[2:3]
	v_add_co_u32_e32 v0, vcc, v13, v0
	v_addc_co_u32_e32 v1, vcc, v14, v1, vcc
	s_waitcnt lgkmcnt(0)
	global_store_dwordx4 v[0:1], v[4:7], off
	v_mov_b32_e32 v11, v2
	ds_read_b128 v[0:3], v12 offset:1408
	v_add_u32_e32 v15, 0x63, v48
	v_lshlrev_b64 v[4:5], 4, v[10:11]
	v_mad_u64_u32 v[8:9], s[0:1], s8, v15, 0
	v_add_co_u32_e32 v10, vcc, v13, v4
	v_addc_co_u32_e32 v11, vcc, v14, v5, vcc
	ds_read_b128 v[4:7], v12 offset:1584
	s_waitcnt lgkmcnt(1)
	global_store_dwordx4 v[10:11], v[0:3], off
	s_nop 0
	v_mov_b32_e32 v0, v9
	v_add_u32_e32 v3, 0x6e, v48
	v_mad_u64_u32 v[0:1], s[0:1], s9, v15, v[0:1]
	v_mad_u64_u32 v[10:11], s[0:1], s8, v3, 0
	v_mov_b32_e32 v9, v0
	v_lshlrev_b64 v[0:1], 4, v[8:9]
	v_mov_b32_e32 v2, v11
	v_mad_u64_u32 v[2:3], s[0:1], s9, v3, v[2:3]
	v_add_co_u32_e32 v0, vcc, v13, v0
	v_addc_co_u32_e32 v1, vcc, v14, v1, vcc
	s_waitcnt lgkmcnt(0)
	global_store_dwordx4 v[0:1], v[4:7], off
	v_mov_b32_e32 v11, v2
	ds_read_b128 v[0:3], v12 offset:1760
	v_lshlrev_b64 v[4:5], 4, v[10:11]
	v_add_co_u32_e32 v4, vcc, v13, v4
	v_addc_co_u32_e32 v5, vcc, v14, v5, vcc
	s_waitcnt lgkmcnt(0)
	global_store_dwordx4 v[4:5], v[0:3], off
.LBB0_16:
	s_endpgm
	.section	.rodata,"a",@progbits
	.p2align	6, 0x0
	.amdhsa_kernel fft_rtc_back_len121_factors_11_11_wgs_121_tpt_11_dp_ip_CI_sbcc_twdbase8_3step
		.amdhsa_group_segment_fixed_size 0
		.amdhsa_private_segment_fixed_size 0
		.amdhsa_kernarg_size 96
		.amdhsa_user_sgpr_count 6
		.amdhsa_user_sgpr_private_segment_buffer 1
		.amdhsa_user_sgpr_dispatch_ptr 0
		.amdhsa_user_sgpr_queue_ptr 0
		.amdhsa_user_sgpr_kernarg_segment_ptr 1
		.amdhsa_user_sgpr_dispatch_id 0
		.amdhsa_user_sgpr_flat_scratch_init 0
		.amdhsa_user_sgpr_private_segment_size 0
		.amdhsa_uses_dynamic_stack 0
		.amdhsa_system_sgpr_private_segment_wavefront_offset 0
		.amdhsa_system_sgpr_workgroup_id_x 1
		.amdhsa_system_sgpr_workgroup_id_y 0
		.amdhsa_system_sgpr_workgroup_id_z 0
		.amdhsa_system_sgpr_workgroup_info 0
		.amdhsa_system_vgpr_workitem_id 0
		.amdhsa_next_free_vgpr 96
		.amdhsa_next_free_sgpr 46
		.amdhsa_reserve_vcc 1
		.amdhsa_reserve_flat_scratch 0
		.amdhsa_float_round_mode_32 0
		.amdhsa_float_round_mode_16_64 0
		.amdhsa_float_denorm_mode_32 3
		.amdhsa_float_denorm_mode_16_64 3
		.amdhsa_dx10_clamp 1
		.amdhsa_ieee_mode 1
		.amdhsa_fp16_overflow 0
		.amdhsa_exception_fp_ieee_invalid_op 0
		.amdhsa_exception_fp_denorm_src 0
		.amdhsa_exception_fp_ieee_div_zero 0
		.amdhsa_exception_fp_ieee_overflow 0
		.amdhsa_exception_fp_ieee_underflow 0
		.amdhsa_exception_fp_ieee_inexact 0
		.amdhsa_exception_int_div_zero 0
	.end_amdhsa_kernel
	.text
.Lfunc_end0:
	.size	fft_rtc_back_len121_factors_11_11_wgs_121_tpt_11_dp_ip_CI_sbcc_twdbase8_3step, .Lfunc_end0-fft_rtc_back_len121_factors_11_11_wgs_121_tpt_11_dp_ip_CI_sbcc_twdbase8_3step
                                        ; -- End function
	.section	.AMDGPU.csdata,"",@progbits
; Kernel info:
; codeLenInByte = 11216
; NumSgprs: 50
; NumVgprs: 96
; ScratchSize: 0
; MemoryBound: 0
; FloatMode: 240
; IeeeMode: 1
; LDSByteSize: 0 bytes/workgroup (compile time only)
; SGPRBlocks: 6
; VGPRBlocks: 23
; NumSGPRsForWavesPerEU: 50
; NumVGPRsForWavesPerEU: 96
; Occupancy: 2
; WaveLimiterHint : 1
; COMPUTE_PGM_RSRC2:SCRATCH_EN: 0
; COMPUTE_PGM_RSRC2:USER_SGPR: 6
; COMPUTE_PGM_RSRC2:TRAP_HANDLER: 0
; COMPUTE_PGM_RSRC2:TGID_X_EN: 1
; COMPUTE_PGM_RSRC2:TGID_Y_EN: 0
; COMPUTE_PGM_RSRC2:TGID_Z_EN: 0
; COMPUTE_PGM_RSRC2:TIDIG_COMP_CNT: 0
	.type	__hip_cuid_7895aa5ac42a965b,@object ; @__hip_cuid_7895aa5ac42a965b
	.section	.bss,"aw",@nobits
	.globl	__hip_cuid_7895aa5ac42a965b
__hip_cuid_7895aa5ac42a965b:
	.byte	0                               ; 0x0
	.size	__hip_cuid_7895aa5ac42a965b, 1

	.ident	"AMD clang version 19.0.0git (https://github.com/RadeonOpenCompute/llvm-project roc-6.4.0 25133 c7fe45cf4b819c5991fe208aaa96edf142730f1d)"
	.section	".note.GNU-stack","",@progbits
	.addrsig
	.addrsig_sym __hip_cuid_7895aa5ac42a965b
	.amdgpu_metadata
---
amdhsa.kernels:
  - .args:
      - .actual_access:  read_only
        .address_space:  global
        .offset:         0
        .size:           8
        .value_kind:     global_buffer
      - .address_space:  global
        .offset:         8
        .size:           8
        .value_kind:     global_buffer
      - .offset:         16
        .size:           8
        .value_kind:     by_value
      - .actual_access:  read_only
        .address_space:  global
        .offset:         24
        .size:           8
        .value_kind:     global_buffer
      - .actual_access:  read_only
        .address_space:  global
        .offset:         32
        .size:           8
        .value_kind:     global_buffer
      - .offset:         40
        .size:           8
        .value_kind:     by_value
      - .actual_access:  read_only
        .address_space:  global
        .offset:         48
        .size:           8
        .value_kind:     global_buffer
      - .actual_access:  read_only
        .address_space:  global
        .offset:         56
        .size:           8
        .value_kind:     global_buffer
      - .offset:         64
        .size:           4
        .value_kind:     by_value
      - .actual_access:  read_only
        .address_space:  global
        .offset:         72
        .size:           8
        .value_kind:     global_buffer
      - .actual_access:  read_only
        .address_space:  global
        .offset:         80
        .size:           8
        .value_kind:     global_buffer
      - .address_space:  global
        .offset:         88
        .size:           8
        .value_kind:     global_buffer
    .group_segment_fixed_size: 0
    .kernarg_segment_align: 8
    .kernarg_segment_size: 96
    .language:       OpenCL C
    .language_version:
      - 2
      - 0
    .max_flat_workgroup_size: 121
    .name:           fft_rtc_back_len121_factors_11_11_wgs_121_tpt_11_dp_ip_CI_sbcc_twdbase8_3step
    .private_segment_fixed_size: 0
    .sgpr_count:     50
    .sgpr_spill_count: 0
    .symbol:         fft_rtc_back_len121_factors_11_11_wgs_121_tpt_11_dp_ip_CI_sbcc_twdbase8_3step.kd
    .uniform_work_group_size: 1
    .uses_dynamic_stack: false
    .vgpr_count:     96
    .vgpr_spill_count: 0
    .wavefront_size: 64
amdhsa.target:   amdgcn-amd-amdhsa--gfx906
amdhsa.version:
  - 1
  - 2
...

	.end_amdgpu_metadata
